;; amdgpu-corpus repo=ROCm/rocFFT kind=compiled arch=gfx1201 opt=O3
	.text
	.amdgcn_target "amdgcn-amd-amdhsa--gfx1201"
	.amdhsa_code_object_version 6
	.protected	fft_rtc_back_len1274_factors_2_13_7_7_wgs_182_tpt_182_halfLds_dp_op_CI_CI_sbrr_dirReg ; -- Begin function fft_rtc_back_len1274_factors_2_13_7_7_wgs_182_tpt_182_halfLds_dp_op_CI_CI_sbrr_dirReg
	.globl	fft_rtc_back_len1274_factors_2_13_7_7_wgs_182_tpt_182_halfLds_dp_op_CI_CI_sbrr_dirReg
	.p2align	8
	.type	fft_rtc_back_len1274_factors_2_13_7_7_wgs_182_tpt_182_halfLds_dp_op_CI_CI_sbrr_dirReg,@function
fft_rtc_back_len1274_factors_2_13_7_7_wgs_182_tpt_182_halfLds_dp_op_CI_CI_sbrr_dirReg: ; @fft_rtc_back_len1274_factors_2_13_7_7_wgs_182_tpt_182_halfLds_dp_op_CI_CI_sbrr_dirReg
; %bb.0:
	s_clause 0x2
	s_load_b128 s[12:15], s[0:1], 0x18
	s_load_b128 s[8:11], s[0:1], 0x0
	;; [unrolled: 1-line block ×3, first 2 shown]
	v_mul_u32_u24_e32 v1, 0x169, v0
	v_mov_b32_e32 v4, 0
	v_mov_b32_e32 v5, 0
	s_wait_kmcnt 0x0
	s_load_b64 s[18:19], s[12:13], 0x0
	s_load_b64 s[16:17], s[14:15], 0x0
	v_lshrrev_b32_e32 v2, 16, v1
	v_mov_b32_e32 v1, 0
	v_cmp_lt_u64_e64 s2, s[10:11], 2
	s_delay_alu instid0(VALU_DEP_2) | instskip(NEXT) | instid1(VALU_DEP_2)
	v_dual_mov_b32 v7, v1 :: v_dual_add_nc_u32 v6, ttmp9, v2
	s_and_b32 vcc_lo, exec_lo, s2
	s_cbranch_vccnz .LBB0_8
; %bb.1:
	s_load_b64 s[2:3], s[0:1], 0x10
	v_mov_b32_e32 v4, 0
	v_mov_b32_e32 v5, 0
	s_add_nc_u64 s[20:21], s[14:15], 8
	s_add_nc_u64 s[22:23], s[12:13], 8
	s_mov_b64 s[24:25], 1
	s_delay_alu instid0(VALU_DEP_1)
	v_dual_mov_b32 v55, v5 :: v_dual_mov_b32 v54, v4
	s_wait_kmcnt 0x0
	s_add_nc_u64 s[26:27], s[2:3], 8
	s_mov_b32 s3, 0
.LBB0_2:                                ; =>This Inner Loop Header: Depth=1
	s_load_b64 s[28:29], s[26:27], 0x0
                                        ; implicit-def: $vgpr56_vgpr57
	s_mov_b32 s2, exec_lo
	s_wait_kmcnt 0x0
	v_or_b32_e32 v2, s29, v7
	s_delay_alu instid0(VALU_DEP_1)
	v_cmpx_ne_u64_e32 0, v[1:2]
	s_wait_alu 0xfffe
	s_xor_b32 s30, exec_lo, s2
	s_cbranch_execz .LBB0_4
; %bb.3:                                ;   in Loop: Header=BB0_2 Depth=1
	s_cvt_f32_u32 s2, s28
	s_cvt_f32_u32 s31, s29
	s_sub_nc_u64 s[36:37], 0, s[28:29]
	s_wait_alu 0xfffe
	s_delay_alu instid0(SALU_CYCLE_1) | instskip(SKIP_1) | instid1(SALU_CYCLE_2)
	s_fmamk_f32 s2, s31, 0x4f800000, s2
	s_wait_alu 0xfffe
	v_s_rcp_f32 s2, s2
	s_delay_alu instid0(TRANS32_DEP_1) | instskip(SKIP_1) | instid1(SALU_CYCLE_2)
	s_mul_f32 s2, s2, 0x5f7ffffc
	s_wait_alu 0xfffe
	s_mul_f32 s31, s2, 0x2f800000
	s_wait_alu 0xfffe
	s_delay_alu instid0(SALU_CYCLE_2) | instskip(SKIP_1) | instid1(SALU_CYCLE_2)
	s_trunc_f32 s31, s31
	s_wait_alu 0xfffe
	s_fmamk_f32 s2, s31, 0xcf800000, s2
	s_cvt_u32_f32 s35, s31
	s_wait_alu 0xfffe
	s_delay_alu instid0(SALU_CYCLE_1) | instskip(SKIP_1) | instid1(SALU_CYCLE_2)
	s_cvt_u32_f32 s34, s2
	s_wait_alu 0xfffe
	s_mul_u64 s[38:39], s[36:37], s[34:35]
	s_wait_alu 0xfffe
	s_mul_hi_u32 s41, s34, s39
	s_mul_i32 s40, s34, s39
	s_mul_hi_u32 s2, s34, s38
	s_mul_i32 s33, s35, s38
	s_wait_alu 0xfffe
	s_add_nc_u64 s[40:41], s[2:3], s[40:41]
	s_mul_hi_u32 s31, s35, s38
	s_mul_hi_u32 s42, s35, s39
	s_add_co_u32 s2, s40, s33
	s_wait_alu 0xfffe
	s_add_co_ci_u32 s2, s41, s31
	s_mul_i32 s38, s35, s39
	s_add_co_ci_u32 s39, s42, 0
	s_wait_alu 0xfffe
	s_add_nc_u64 s[38:39], s[2:3], s[38:39]
	s_wait_alu 0xfffe
	v_add_co_u32 v2, s2, s34, s38
	s_delay_alu instid0(VALU_DEP_1) | instskip(SKIP_1) | instid1(VALU_DEP_1)
	s_cmp_lg_u32 s2, 0
	s_add_co_ci_u32 s35, s35, s39
	v_readfirstlane_b32 s34, v2
	s_wait_alu 0xfffe
	s_delay_alu instid0(VALU_DEP_1)
	s_mul_u64 s[36:37], s[36:37], s[34:35]
	s_wait_alu 0xfffe
	s_mul_hi_u32 s39, s34, s37
	s_mul_i32 s38, s34, s37
	s_mul_hi_u32 s2, s34, s36
	s_mul_i32 s33, s35, s36
	s_wait_alu 0xfffe
	s_add_nc_u64 s[38:39], s[2:3], s[38:39]
	s_mul_hi_u32 s31, s35, s36
	s_mul_hi_u32 s34, s35, s37
	s_wait_alu 0xfffe
	s_add_co_u32 s2, s38, s33
	s_add_co_ci_u32 s2, s39, s31
	s_mul_i32 s36, s35, s37
	s_add_co_ci_u32 s37, s34, 0
	s_wait_alu 0xfffe
	s_add_nc_u64 s[36:37], s[2:3], s[36:37]
	s_wait_alu 0xfffe
	v_add_co_u32 v8, s2, v2, s36
	s_delay_alu instid0(VALU_DEP_1) | instskip(SKIP_1) | instid1(VALU_DEP_1)
	s_cmp_lg_u32 s2, 0
	s_add_co_ci_u32 s2, s35, s37
	v_mul_hi_u32 v12, v6, v8
	s_wait_alu 0xfffe
	v_mad_co_u64_u32 v[2:3], null, v6, s2, 0
	v_mad_co_u64_u32 v[8:9], null, v7, v8, 0
	;; [unrolled: 1-line block ×3, first 2 shown]
	s_delay_alu instid0(VALU_DEP_3) | instskip(SKIP_1) | instid1(VALU_DEP_4)
	v_add_co_u32 v2, vcc_lo, v12, v2
	s_wait_alu 0xfffd
	v_add_co_ci_u32_e32 v3, vcc_lo, 0, v3, vcc_lo
	s_delay_alu instid0(VALU_DEP_2) | instskip(SKIP_1) | instid1(VALU_DEP_2)
	v_add_co_u32 v2, vcc_lo, v2, v8
	s_wait_alu 0xfffd
	v_add_co_ci_u32_e32 v2, vcc_lo, v3, v9, vcc_lo
	s_wait_alu 0xfffd
	v_add_co_ci_u32_e32 v3, vcc_lo, 0, v11, vcc_lo
	s_delay_alu instid0(VALU_DEP_2) | instskip(SKIP_1) | instid1(VALU_DEP_2)
	v_add_co_u32 v8, vcc_lo, v2, v10
	s_wait_alu 0xfffd
	v_add_co_ci_u32_e32 v9, vcc_lo, 0, v3, vcc_lo
	s_delay_alu instid0(VALU_DEP_2) | instskip(SKIP_1) | instid1(VALU_DEP_3)
	v_mul_lo_u32 v10, s29, v8
	v_mad_co_u64_u32 v[2:3], null, s28, v8, 0
	v_mul_lo_u32 v11, s28, v9
	s_delay_alu instid0(VALU_DEP_2) | instskip(NEXT) | instid1(VALU_DEP_2)
	v_sub_co_u32 v2, vcc_lo, v6, v2
	v_add3_u32 v3, v3, v11, v10
	s_delay_alu instid0(VALU_DEP_1) | instskip(SKIP_1) | instid1(VALU_DEP_1)
	v_sub_nc_u32_e32 v10, v7, v3
	s_wait_alu 0xfffd
	v_subrev_co_ci_u32_e64 v10, s2, s29, v10, vcc_lo
	v_add_co_u32 v11, s2, v8, 2
	s_wait_alu 0xf1ff
	v_add_co_ci_u32_e64 v12, s2, 0, v9, s2
	v_sub_co_u32 v13, s2, v2, s28
	v_sub_co_ci_u32_e32 v3, vcc_lo, v7, v3, vcc_lo
	s_wait_alu 0xf1ff
	v_subrev_co_ci_u32_e64 v10, s2, 0, v10, s2
	s_delay_alu instid0(VALU_DEP_3) | instskip(NEXT) | instid1(VALU_DEP_3)
	v_cmp_le_u32_e32 vcc_lo, s28, v13
	v_cmp_eq_u32_e64 s2, s29, v3
	s_wait_alu 0xfffd
	v_cndmask_b32_e64 v13, 0, -1, vcc_lo
	v_cmp_le_u32_e32 vcc_lo, s29, v10
	s_wait_alu 0xfffd
	v_cndmask_b32_e64 v14, 0, -1, vcc_lo
	v_cmp_le_u32_e32 vcc_lo, s28, v2
	;; [unrolled: 3-line block ×3, first 2 shown]
	s_wait_alu 0xfffd
	v_cndmask_b32_e64 v15, 0, -1, vcc_lo
	v_cmp_eq_u32_e32 vcc_lo, s29, v10
	s_wait_alu 0xf1ff
	s_delay_alu instid0(VALU_DEP_2)
	v_cndmask_b32_e64 v2, v15, v2, s2
	s_wait_alu 0xfffd
	v_cndmask_b32_e32 v10, v14, v13, vcc_lo
	v_add_co_u32 v13, vcc_lo, v8, 1
	s_wait_alu 0xfffd
	v_add_co_ci_u32_e32 v14, vcc_lo, 0, v9, vcc_lo
	s_delay_alu instid0(VALU_DEP_3) | instskip(SKIP_1) | instid1(VALU_DEP_2)
	v_cmp_ne_u32_e32 vcc_lo, 0, v10
	s_wait_alu 0xfffd
	v_dual_cndmask_b32 v3, v14, v12 :: v_dual_cndmask_b32 v10, v13, v11
	v_cmp_ne_u32_e32 vcc_lo, 0, v2
	s_wait_alu 0xfffd
	s_delay_alu instid0(VALU_DEP_2)
	v_dual_cndmask_b32 v57, v9, v3 :: v_dual_cndmask_b32 v56, v8, v10
.LBB0_4:                                ;   in Loop: Header=BB0_2 Depth=1
	s_wait_alu 0xfffe
	s_and_not1_saveexec_b32 s2, s30
	s_cbranch_execz .LBB0_6
; %bb.5:                                ;   in Loop: Header=BB0_2 Depth=1
	v_cvt_f32_u32_e32 v2, s28
	s_sub_co_i32 s30, 0, s28
	v_mov_b32_e32 v57, v1
	s_delay_alu instid0(VALU_DEP_2) | instskip(NEXT) | instid1(TRANS32_DEP_1)
	v_rcp_iflag_f32_e32 v2, v2
	v_mul_f32_e32 v2, 0x4f7ffffe, v2
	s_delay_alu instid0(VALU_DEP_1) | instskip(SKIP_1) | instid1(VALU_DEP_1)
	v_cvt_u32_f32_e32 v2, v2
	s_wait_alu 0xfffe
	v_mul_lo_u32 v3, s30, v2
	s_delay_alu instid0(VALU_DEP_1) | instskip(NEXT) | instid1(VALU_DEP_1)
	v_mul_hi_u32 v3, v2, v3
	v_add_nc_u32_e32 v2, v2, v3
	s_delay_alu instid0(VALU_DEP_1) | instskip(NEXT) | instid1(VALU_DEP_1)
	v_mul_hi_u32 v2, v6, v2
	v_mul_lo_u32 v3, v2, s28
	v_add_nc_u32_e32 v8, 1, v2
	s_delay_alu instid0(VALU_DEP_2) | instskip(NEXT) | instid1(VALU_DEP_1)
	v_sub_nc_u32_e32 v3, v6, v3
	v_subrev_nc_u32_e32 v9, s28, v3
	v_cmp_le_u32_e32 vcc_lo, s28, v3
	s_wait_alu 0xfffd
	s_delay_alu instid0(VALU_DEP_2) | instskip(NEXT) | instid1(VALU_DEP_1)
	v_dual_cndmask_b32 v3, v3, v9 :: v_dual_cndmask_b32 v2, v2, v8
	v_cmp_le_u32_e32 vcc_lo, s28, v3
	s_delay_alu instid0(VALU_DEP_2) | instskip(SKIP_1) | instid1(VALU_DEP_1)
	v_add_nc_u32_e32 v8, 1, v2
	s_wait_alu 0xfffd
	v_cndmask_b32_e32 v56, v2, v8, vcc_lo
.LBB0_6:                                ;   in Loop: Header=BB0_2 Depth=1
	s_wait_alu 0xfffe
	s_or_b32 exec_lo, exec_lo, s2
	v_mul_lo_u32 v8, v57, s28
	s_delay_alu instid0(VALU_DEP_2)
	v_mul_lo_u32 v9, v56, s29
	s_load_b64 s[30:31], s[22:23], 0x0
	v_mad_co_u64_u32 v[2:3], null, v56, s28, 0
	s_load_b64 s[28:29], s[20:21], 0x0
	s_add_nc_u64 s[24:25], s[24:25], 1
	s_add_nc_u64 s[20:21], s[20:21], 8
	s_wait_alu 0xfffe
	v_cmp_ge_u64_e64 s2, s[24:25], s[10:11]
	s_add_nc_u64 s[22:23], s[22:23], 8
	s_add_nc_u64 s[26:27], s[26:27], 8
	v_add3_u32 v3, v3, v9, v8
	v_sub_co_u32 v2, vcc_lo, v6, v2
	s_wait_alu 0xfffd
	s_delay_alu instid0(VALU_DEP_2) | instskip(SKIP_2) | instid1(VALU_DEP_1)
	v_sub_co_ci_u32_e32 v3, vcc_lo, v7, v3, vcc_lo
	s_and_b32 vcc_lo, exec_lo, s2
	s_wait_kmcnt 0x0
	v_mul_lo_u32 v6, s30, v3
	v_mul_lo_u32 v7, s31, v2
	v_mad_co_u64_u32 v[4:5], null, s30, v2, v[4:5]
	v_mul_lo_u32 v3, s28, v3
	v_mul_lo_u32 v8, s29, v2
	v_mad_co_u64_u32 v[54:55], null, s28, v2, v[54:55]
	s_delay_alu instid0(VALU_DEP_4) | instskip(NEXT) | instid1(VALU_DEP_2)
	v_add3_u32 v5, v7, v5, v6
	v_add3_u32 v55, v8, v55, v3
	s_wait_alu 0xfffe
	s_cbranch_vccnz .LBB0_9
; %bb.7:                                ;   in Loop: Header=BB0_2 Depth=1
	v_dual_mov_b32 v6, v56 :: v_dual_mov_b32 v7, v57
	s_branch .LBB0_2
.LBB0_8:
	v_dual_mov_b32 v55, v5 :: v_dual_mov_b32 v54, v4
	s_delay_alu instid0(VALU_DEP_2)
	v_dual_mov_b32 v57, v7 :: v_dual_mov_b32 v56, v6
.LBB0_9:
	s_load_b64 s[0:1], s[0:1], 0x28
	v_mul_hi_u32 v1, 0x1681682, v0
	s_lshl_b64 s[10:11], s[10:11], 3
                                        ; implicit-def: $vgpr73
                                        ; implicit-def: $vgpr74
                                        ; implicit-def: $vgpr75
	s_wait_alu 0xfffe
	s_add_nc_u64 s[2:3], s[14:15], s[10:11]
                                        ; implicit-def: $sgpr14
	s_wait_kmcnt 0x0
	v_cmp_gt_u64_e32 vcc_lo, s[0:1], v[56:57]
	v_cmp_le_u64_e64 s0, s[0:1], v[56:57]
	s_delay_alu instid0(VALU_DEP_1)
	s_and_saveexec_b32 s1, s0
	s_wait_alu 0xfffe
	s_xor_b32 s0, exec_lo, s1
; %bb.10:
	v_mul_u32_u24_e32 v1, 0xb6, v1
	s_mov_b32 s14, 0
                                        ; implicit-def: $vgpr4_vgpr5
	s_delay_alu instid0(VALU_DEP_1) | instskip(NEXT) | instid1(VALU_DEP_1)
	v_sub_nc_u32_e32 v73, v0, v1
                                        ; implicit-def: $vgpr1
                                        ; implicit-def: $vgpr0
	v_add_nc_u32_e32 v74, 0xb6, v73
	v_add_nc_u32_e32 v75, 0x16c, v73
; %bb.11:
	s_wait_alu 0xfffe
	s_or_saveexec_b32 s1, s0
	s_load_b64 s[2:3], s[2:3], 0x0
	v_mov_b32_e32 v72, s14
                                        ; implicit-def: $vgpr52_vgpr53
                                        ; implicit-def: $vgpr48_vgpr49
                                        ; implicit-def: $vgpr40_vgpr41
                                        ; implicit-def: $vgpr28_vgpr29
                                        ; implicit-def: $vgpr44_vgpr45
                                        ; implicit-def: $vgpr32_vgpr33
                                        ; implicit-def: $vgpr2_vgpr3
                                        ; implicit-def: $vgpr36_vgpr37
	s_xor_b32 exec_lo, exec_lo, s1
	s_cbranch_execz .LBB0_15
; %bb.12:
	s_add_nc_u64 s[10:11], s[12:13], s[10:11]
	v_mul_u32_u24_e32 v1, 0xb6, v1
	s_load_b64 s[10:11], s[10:11], 0x0
                                        ; implicit-def: $vgpr46_vgpr47
                                        ; implicit-def: $vgpr50_vgpr51
	s_delay_alu instid0(VALU_DEP_1) | instskip(SKIP_1) | instid1(VALU_DEP_2)
	v_sub_nc_u32_e32 v73, v0, v1
	v_lshlrev_b64_e32 v[0:1], 4, v[4:5]
	v_mad_co_u64_u32 v[2:3], null, s18, v73, 0
	v_add_nc_u32_e32 v15, 0x27d, v73
	v_add_nc_u32_e32 v75, 0x16c, v73
	;; [unrolled: 1-line block ×3, first 2 shown]
	s_delay_alu instid0(VALU_DEP_3) | instskip(SKIP_4) | instid1(VALU_DEP_3)
	v_mad_co_u64_u32 v[6:7], null, s18, v15, 0
	s_wait_kmcnt 0x0
	v_mad_co_u64_u32 v[4:5], null, s10, v56, 0
	v_mul_lo_u32 v16, s11, v56
	v_mul_lo_u32 v17, s10, v57
	v_mad_co_u64_u32 v[12:13], null, s19, v73, v[3:4]
	v_add_nc_u32_e32 v74, 0xb6, v73
	s_delay_alu instid0(VALU_DEP_3) | instskip(SKIP_1) | instid1(VALU_DEP_4)
	v_add3_u32 v5, v5, v17, v16
	v_mad_co_u64_u32 v[13:14], null, s18, v75, 0
	v_mov_b32_e32 v3, v12
	s_delay_alu instid0(VALU_DEP_4) | instskip(NEXT) | instid1(VALU_DEP_4)
	v_mad_co_u64_u32 v[8:9], null, s18, v74, 0
	v_lshlrev_b64_e32 v[4:5], 4, v[4:5]
	s_delay_alu instid0(VALU_DEP_3) | instskip(NEXT) | instid1(VALU_DEP_2)
	v_lshlrev_b64_e32 v[2:3], 4, v[2:3]
	v_add_co_u32 v4, s0, s4, v4
	s_delay_alu instid0(VALU_DEP_4)
	v_mad_co_u64_u32 v[15:16], null, s19, v15, v[7:8]
	v_add_nc_u32_e32 v18, 0x333, v73
	s_wait_alu 0xf1ff
	v_add_co_ci_u32_e64 v5, s0, s5, v5, s0
	v_add_co_u32 v4, s0, v4, v0
	s_mov_b32 s4, exec_lo
	s_delay_alu instid0(VALU_DEP_4) | instskip(SKIP_3) | instid1(VALU_DEP_3)
	v_mov_b32_e32 v7, v15
	v_mad_co_u64_u32 v[10:11], null, s18, v18, 0
	s_wait_alu 0xf1ff
	v_add_co_ci_u32_e64 v5, s0, v5, v1, s0
	v_lshlrev_b64_e32 v[6:7], 4, v[6:7]
	s_delay_alu instid0(VALU_DEP_3) | instskip(NEXT) | instid1(VALU_DEP_4)
	v_mad_co_u64_u32 v[16:17], null, s19, v74, v[9:10]
	v_mad_co_u64_u32 v[0:1], null, s19, v18, v[11:12]
	v_mad_co_u64_u32 v[17:18], null, s18, v19, 0
	v_add_co_u32 v1, s0, v4, v2
	s_wait_alu 0xf1ff
	v_add_co_ci_u32_e64 v2, s0, v5, v3, s0
	v_mov_b32_e32 v3, v14
	s_delay_alu instid0(VALU_DEP_4) | instskip(SKIP_2) | instid1(VALU_DEP_4)
	v_dual_mov_b32 v11, v0 :: v_dual_mov_b32 v0, v18
	v_mov_b32_e32 v9, v16
	v_add_co_u32 v6, s0, v4, v6
	v_mad_co_u64_u32 v[14:15], null, s19, v75, v[3:4]
	s_delay_alu instid0(VALU_DEP_4) | instskip(NEXT) | instid1(VALU_DEP_4)
	v_mad_co_u64_u32 v[15:16], null, s19, v19, v[0:1]
	v_lshlrev_b64_e32 v[8:9], 4, v[8:9]
	v_lshlrev_b64_e32 v[10:11], 4, v[10:11]
	s_wait_alu 0xf1ff
	v_add_co_ci_u32_e64 v7, s0, v5, v7, s0
	v_lshlrev_b64_e32 v[12:13], 4, v[13:14]
	v_mov_b32_e32 v18, v15
	v_add_co_u32 v8, s0, v4, v8
	s_wait_alu 0xf1ff
	v_add_co_ci_u32_e64 v9, s0, v5, v9, s0
	v_add_co_u32 v10, s0, v4, v10
	v_lshlrev_b64_e32 v[14:15], 4, v[17:18]
	s_wait_alu 0xf1ff
	v_add_co_ci_u32_e64 v11, s0, v5, v11, s0
	v_add_co_u32 v12, s0, v4, v12
	s_wait_alu 0xf1ff
	v_add_co_ci_u32_e64 v13, s0, v5, v13, s0
	v_add_co_u32 v14, s0, v4, v14
	s_wait_alu 0xf1ff
	v_add_co_ci_u32_e64 v15, s0, v5, v15, s0
	s_clause 0x5
	global_load_b128 v[34:37], v[1:2], off
	global_load_b128 v[0:3], v[6:7], off
	;; [unrolled: 1-line block ×6, first 2 shown]
	v_cmpx_gt_u32_e32 0x5b, v73
	s_cbranch_execz .LBB0_14
; %bb.13:
	v_add_nc_u32_e32 v10, 0x222, v73
	v_add_nc_u32_e32 v12, 0x49f, v73
	s_delay_alu instid0(VALU_DEP_2) | instskip(NEXT) | instid1(VALU_DEP_2)
	v_mad_co_u64_u32 v[6:7], null, s18, v10, 0
	v_mad_co_u64_u32 v[8:9], null, s18, v12, 0
	s_delay_alu instid0(VALU_DEP_1) | instskip(NEXT) | instid1(VALU_DEP_1)
	v_mad_co_u64_u32 v[10:11], null, s19, v10, v[7:8]
	v_mov_b32_e32 v7, v10
	s_delay_alu instid0(VALU_DEP_3) | instskip(NEXT) | instid1(VALU_DEP_2)
	v_mad_co_u64_u32 v[11:12], null, s19, v12, v[9:10]
	v_lshlrev_b64_e32 v[6:7], 4, v[6:7]
	s_delay_alu instid0(VALU_DEP_2) | instskip(NEXT) | instid1(VALU_DEP_2)
	v_mov_b32_e32 v9, v11
	v_add_co_u32 v6, s0, v4, v6
	s_wait_alu 0xf1ff
	s_delay_alu instid0(VALU_DEP_3) | instskip(NEXT) | instid1(VALU_DEP_3)
	v_add_co_ci_u32_e64 v7, s0, v5, v7, s0
	v_lshlrev_b64_e32 v[8:9], 4, v[8:9]
	s_delay_alu instid0(VALU_DEP_1) | instskip(SKIP_1) | instid1(VALU_DEP_2)
	v_add_co_u32 v4, s0, v4, v8
	s_wait_alu 0xf1ff
	v_add_co_ci_u32_e64 v5, s0, v5, v9, s0
	s_clause 0x1
	global_load_b128 v[46:49], v[6:7], off
	global_load_b128 v[50:53], v[4:5], off
.LBB0_14:
	s_wait_alu 0xfffe
	s_or_b32 exec_lo, exec_lo, s4
	v_mov_b32_e32 v72, v73
.LBB0_15:
	s_or_b32 exec_lo, exec_lo, s1
	s_wait_loadcnt 0x4
	v_add_f64_e64 v[6:7], v[34:35], -v[0:1]
	s_wait_loadcnt 0x2
	v_add_f64_e64 v[10:11], v[30:31], -v[42:43]
	;; [unrolled: 2-line block ×3, first 2 shown]
	v_add_f64_e64 v[18:19], v[46:47], -v[50:51]
	v_add_nc_u32_e32 v0, 0x222, v73
	v_lshl_add_u32 v50, v73, 4, 0
	v_lshl_add_u32 v43, v75, 4, 0
	v_cmp_gt_u32_e64 s1, 0x5b, v73
	s_delay_alu instid0(VALU_DEP_4)
	v_lshl_add_u32 v42, v0, 4, 0
	v_fma_f64 v[4:5], v[34:35], 2.0, -v[6:7]
	v_fma_f64 v[8:9], v[30:31], 2.0, -v[10:11]
	;; [unrolled: 1-line block ×4, first 2 shown]
	v_lshl_add_u32 v46, v74, 4, 0
	ds_store_b128 v50, v[4:7]
	ds_store_b128 v46, v[8:11]
	;; [unrolled: 1-line block ×3, first 2 shown]
	s_and_saveexec_b32 s0, s1
	s_cbranch_execz .LBB0_17
; %bb.16:
	ds_store_b128 v42, v[16:19]
.LBB0_17:
	s_wait_alu 0xfffe
	s_or_b32 exec_lo, exec_lo, s0
	v_cmp_gt_u32_e64 s0, 0x62, v73
	v_lshlrev_b32_e32 v51, 3, v73
	global_wb scope:SCOPE_SE
	s_wait_dscnt 0x0
	s_wait_kmcnt 0x0
	s_barrier_signal -1
	s_barrier_wait -1
	global_inv scope:SCOPE_SE
                                        ; implicit-def: $vgpr68_vgpr69
                                        ; implicit-def: $vgpr22_vgpr23
                                        ; implicit-def: $vgpr26_vgpr27
	s_and_saveexec_b32 s4, s0
	s_cbranch_execz .LBB0_19
; %bb.18:
	v_sub_nc_u32_e32 v0, v50, v51
	s_delay_alu instid0(VALU_DEP_1)
	v_add_nc_u32_e32 v1, 0x400, v0
	v_add_nc_u32_e32 v12, 0x800, v0
	v_add_nc_u32_e32 v16, 0x1000, v0
	v_add_nc_u32_e32 v20, 0x1800, v0
	v_add_nc_u32_e32 v21, 0x1c00, v0
	ds_load_2addr_b64 v[4:7], v0 offset1:98
	ds_load_2addr_b64 v[8:11], v1 offset0:68 offset1:166
	ds_load_2addr_b64 v[12:15], v12 offset0:136 offset1:234
	;; [unrolled: 1-line block ×5, first 2 shown]
	ds_load_b64 v[68:69], v0 offset:9408
.LBB0_19:
	s_wait_alu 0xfffe
	s_or_b32 exec_lo, exec_lo, s4
	v_add_f64_e64 v[2:3], v[36:37], -v[2:3]
	v_add_f64_e64 v[34:35], v[32:33], -v[44:45]
	;; [unrolled: 1-line block ×4, first 2 shown]
	global_wb scope:SCOPE_SE
	s_wait_dscnt 0x0
	s_barrier_signal -1
	s_barrier_wait -1
	global_inv scope:SCOPE_SE
	v_fma_f64 v[0:1], v[36:37], 2.0, -v[2:3]
	v_fma_f64 v[32:33], v[32:33], 2.0, -v[34:35]
	;; [unrolled: 1-line block ×4, first 2 shown]
	ds_store_b128 v50, v[0:3]
	ds_store_b128 v46, v[32:35]
	;; [unrolled: 1-line block ×3, first 2 shown]
	s_and_saveexec_b32 s4, s1
	s_cbranch_execz .LBB0_21
; %bb.20:
	ds_store_b128 v42, v[36:39]
.LBB0_21:
	s_wait_alu 0xfffe
	s_or_b32 exec_lo, exec_lo, s4
	global_wb scope:SCOPE_SE
	s_wait_dscnt 0x0
	s_barrier_signal -1
	s_barrier_wait -1
	global_inv scope:SCOPE_SE
                                        ; implicit-def: $vgpr70_vgpr71
                                        ; implicit-def: $vgpr42_vgpr43
                                        ; implicit-def: $vgpr46_vgpr47
	s_and_saveexec_b32 s1, s0
	s_cbranch_execz .LBB0_23
; %bb.22:
	v_sub_nc_u32_e32 v48, v50, v51
	s_delay_alu instid0(VALU_DEP_1)
	v_add_nc_u32_e32 v28, 0x400, v48
	v_add_nc_u32_e32 v29, 0x800, v48
	;; [unrolled: 1-line block ×5, first 2 shown]
	ds_load_2addr_b64 v[0:3], v48 offset1:98
	ds_load_2addr_b64 v[32:35], v28 offset0:68 offset1:166
	ds_load_2addr_b64 v[28:31], v29 offset0:136 offset1:234
	;; [unrolled: 1-line block ×5, first 2 shown]
	ds_load_b64 v[70:71], v48 offset:9408
.LBB0_23:
	s_wait_alu 0xfffe
	s_or_b32 exec_lo, exec_lo, s1
	v_and_b32_e32 v76, 1, v73
	s_delay_alu instid0(VALU_DEP_1) | instskip(NEXT) | instid1(VALU_DEP_1)
	v_mul_u32_u24_e32 v48, 12, v76
	v_lshlrev_b32_e32 v52, 4, v48
	s_clause 0xb
	global_load_b128 v[48:51], v52, s[8:9] offset:16
	global_load_b128 v[62:65], v52, s[8:9] offset:32
	;; [unrolled: 1-line block ×6, first 2 shown]
	global_load_b128 v[93:96], v52, s[8:9]
	global_load_b128 v[97:100], v52, s[8:9] offset:112
	global_load_b128 v[101:104], v52, s[8:9] offset:128
	global_load_b128 v[105:108], v52, s[8:9] offset:144
	global_load_b128 v[109:112], v52, s[8:9] offset:160
	global_load_b128 v[113:116], v52, s[8:9] offset:176
	global_wb scope:SCOPE_SE
	s_wait_loadcnt_dscnt 0x0
	s_barrier_signal -1
	s_barrier_wait -1
	global_inv scope:SCOPE_SE
	v_mul_f64_e32 v[52:53], v[32:33], v[50:51]
	v_mul_f64_e32 v[50:51], v[8:9], v[50:51]
	;; [unrolled: 1-line block ×24, first 2 shown]
	v_fma_f64 v[60:61], v[8:9], v[48:49], v[52:53]
	v_fma_f64 v[64:65], v[32:33], v[48:49], -v[50:51]
	v_fma_f64 v[58:59], v[10:11], v[62:63], v[58:59]
	v_fma_f64 v[62:63], v[34:35], v[62:63], -v[66:67]
	;; [unrolled: 2-line block ×12, first 2 shown]
	v_lshrrev_b32_e32 v68, 1, v73
	s_and_saveexec_b32 s1, s0
	s_cbranch_execz .LBB0_25
; %bb.24:
	v_add_f64_e32 v[2:3], v[4:5], v[38:39]
	s_delay_alu instid0(VALU_DEP_3)
	v_add_f64_e64 v[8:9], v[66:67], -v[10:11]
	v_add_f64_e64 v[6:7], v[64:65], -v[12:13]
	;; [unrolled: 1-line block ×6, first 2 shown]
	s_mov_b32 s28, 0x66966769
	s_mov_b32 s26, 0x2ef20147
	;; [unrolled: 1-line block ×12, first 2 shown]
	s_wait_alu 0xfffe
	s_mov_b32 s34, s24
	s_mov_b32 s36, s28
	v_add_f64_e32 v[77:78], v[38:39], v[40:41]
	s_mov_b32 s5, 0x3fddbe06
	s_mov_b32 s4, 0x4267c47c
	;; [unrolled: 1-line block ×12, first 2 shown]
	v_add_f64_e32 v[99:100], v[60:61], v[22:23]
	s_mov_b32 s20, 0xe00740e9
	s_mov_b32 s21, 0x3fec55a7
	;; [unrolled: 1-line block ×3, first 2 shown]
	v_add_f64_e32 v[2:3], v[2:3], v[60:61]
	v_mul_f64_e32 v[81:82], s[30:31], v[8:9]
	v_mul_f64_e32 v[85:86], s[22:23], v[8:9]
	;; [unrolled: 1-line block ×3, first 2 shown]
	s_wait_alu 0xfffe
	v_mul_f64_e32 v[93:94], s[36:37], v[8:9]
	v_mul_f64_e32 v[95:96], s[34:35], v[8:9]
	;; [unrolled: 1-line block ×7, first 2 shown]
	s_mov_b32 s5, 0xbfddbe06
	v_mul_f64_e32 v[101:102], s[28:29], v[6:7]
	s_wait_alu 0xfffe
	v_mul_f64_e32 v[8:9], s[4:5], v[8:9]
	s_mov_b32 s4, 0x1ea71119
	s_mov_b32 s5, 0x3fe22d96
	v_mul_f64_e32 v[103:104], s[38:39], v[6:7]
	v_mul_f64_e32 v[105:106], s[30:31], v[6:7]
	v_mul_f64_e32 v[107:108], s[26:27], v[6:7]
	v_mul_f64_e32 v[6:7], s[34:35], v[6:7]
	s_mov_b32 s40, s26
	v_mul_f64_e32 v[121:122], s[22:23], v[44:45]
	v_mul_f64_e32 v[123:124], s[34:35], v[44:45]
	;; [unrolled: 1-line block ×5, first 2 shown]
	s_mov_b32 s41, 0x3fcea1e5
	s_mov_b32 s40, s30
	v_mul_f64_e32 v[143:144], s[36:37], v[46:47]
	s_wait_alu 0xfffe
	v_mul_f64_e32 v[141:142], s[40:41], v[46:47]
	v_mul_f64_e32 v[145:146], s[38:39], v[46:47]
	v_add_f64_e32 v[2:3], v[2:3], v[58:59]
	v_fma_f64 v[109:110], v[77:78], s[14:15], -v[81:82]
	v_fma_f64 v[81:82], v[77:78], s[14:15], v[81:82]
	v_fma_f64 v[111:112], v[77:78], s[18:19], -v[85:86]
	v_fma_f64 v[85:86], v[77:78], s[18:19], v[85:86]
	;; [unrolled: 2-line block ×3, first 2 shown]
	v_fma_f64 v[117:118], v[77:78], s[4:5], v[95:96]
	v_fma_f64 v[89:90], v[77:78], s[10:11], v[89:90]
	v_fma_f64 v[93:94], v[77:78], s[12:13], -v[93:94]
	v_fma_f64 v[95:96], v[77:78], s[4:5], -v[95:96]
	;; [unrolled: 1-line block ×3, first 2 shown]
	v_fma_f64 v[79:80], v[99:100], s[20:21], v[79:80]
	v_fma_f64 v[119:120], v[77:78], s[20:21], v[8:9]
	v_fma_f64 v[8:9], v[77:78], s[20:21], -v[8:9]
	v_add_f64_e32 v[77:78], v[58:59], v[20:21]
	v_fma_f64 v[131:132], v[99:100], s[12:13], -v[101:102]
	v_fma_f64 v[101:102], v[99:100], s[12:13], v[101:102]
	v_fma_f64 v[133:134], v[99:100], s[18:19], -v[103:104]
	v_fma_f64 v[103:104], v[99:100], s[18:19], v[103:104]
	;; [unrolled: 2-line block ×5, first 2 shown]
	v_add_f64_e32 v[2:3], v[2:3], v[50:51]
	v_add_f64_e32 v[99:100], v[4:5], v[109:110]
	;; [unrolled: 1-line block ×14, first 2 shown]
	v_mul_f64_e32 v[119:120], s[24:25], v[46:47]
	v_mul_f64_e32 v[46:47], s[26:27], v[46:47]
	v_fma_f64 v[147:148], v[77:78], s[18:19], -v[121:122]
	v_fma_f64 v[121:122], v[77:78], s[18:19], v[121:122]
	v_fma_f64 v[149:150], v[77:78], s[4:5], -v[123:124]
	v_fma_f64 v[123:124], v[77:78], s[4:5], v[123:124]
	;; [unrolled: 2-line block ×6, first 2 shown]
	v_add_f64_e32 v[2:3], v[2:3], v[32:33]
	v_add_f64_e32 v[77:78], v[129:130], v[99:100]
	;; [unrolled: 1-line block ×12, first 2 shown]
	v_mul_f64_e32 v[107:108], s[26:27], v[42:43]
	v_add_f64_e32 v[6:7], v[6:7], v[117:118]
	v_add_f64_e32 v[4:5], v[139:140], v[4:5]
	v_mul_f64_e32 v[109:110], s[40:41], v[42:43]
	v_mul_f64_e32 v[111:112], s[34:35], v[42:43]
	v_mul_f64_e32 v[113:114], s[28:29], v[42:43]
	v_fma_f64 v[115:116], v[8:9], s[4:5], -v[119:120]
	v_fma_f64 v[117:118], v[8:9], s[4:5], v[119:120]
	v_fma_f64 v[119:120], v[8:9], s[14:15], -v[141:142]
	v_fma_f64 v[129:130], v[8:9], s[14:15], v[141:142]
	;; [unrolled: 2-line block ×6, first 2 shown]
	v_mul_f64_e32 v[42:43], s[22:23], v[42:43]
	v_add_f64_e32 v[2:3], v[2:3], v[16:17]
	v_add_f64_e32 v[46:47], v[147:148], v[77:78]
	;; [unrolled: 1-line block ×11, first 2 shown]
	v_mul_f64_e32 v[95:96], s[28:29], v[69:70]
	v_mul_f64_e32 v[105:106], s[26:27], v[69:70]
	v_add_f64_e32 v[6:7], v[44:45], v[6:7]
	v_add_f64_e32 v[4:5], v[157:158], v[4:5]
	;; [unrolled: 1-line block ×3, first 2 shown]
	v_mul_f64_e32 v[121:122], s[24:25], v[69:70]
	v_mul_f64_e32 v[123:124], s[22:23], v[69:70]
	;; [unrolled: 1-line block ×3, first 2 shown]
	v_fma_f64 v[125:126], v[103:104], s[10:11], -v[107:108]
	v_fma_f64 v[107:108], v[103:104], s[10:11], v[107:108]
	v_fma_f64 v[127:128], v[103:104], s[20:21], -v[83:84]
	v_fma_f64 v[83:84], v[103:104], s[20:21], v[83:84]
	v_fma_f64 v[143:144], v[103:104], s[14:15], -v[109:110]
	v_fma_f64 v[145:146], v[103:104], s[4:5], -v[111:112]
	v_fma_f64 v[111:112], v[103:104], s[4:5], v[111:112]
	v_fma_f64 v[147:148], v[103:104], s[12:13], -v[113:114]
	v_fma_f64 v[113:114], v[103:104], s[12:13], v[113:114]
	v_fma_f64 v[109:110], v[103:104], s[14:15], v[109:110]
	v_fma_f64 v[149:150], v[103:104], s[18:19], -v[42:43]
	v_fma_f64 v[42:43], v[103:104], s[18:19], v[42:43]
	v_add_f64_e32 v[2:3], v[2:3], v[18:19]
	v_add_f64_e32 v[46:47], v[115:116], v[46:47]
	;; [unrolled: 1-line block ×13, first 2 shown]
	v_fma_f64 v[8:9], v[44:45], s[12:13], -v[95:96]
	v_fma_f64 v[95:96], v[44:45], s[12:13], v[95:96]
	v_fma_f64 v[101:102], v[44:45], s[10:11], -v[105:106]
	v_fma_f64 v[103:104], v[44:45], s[10:11], v[105:106]
	;; [unrolled: 2-line block ×6, first 2 shown]
	v_add_f64_e32 v[2:3], v[2:3], v[34:35]
	v_add_f64_e32 v[46:47], v[125:126], v[46:47]
	;; [unrolled: 1-line block ×26, first 2 shown]
	v_mul_u32_u24_e32 v44, 26, v68
	s_delay_alu instid0(VALU_DEP_1) | instskip(NEXT) | instid1(VALU_DEP_1)
	v_or_b32_e32 v44, v44, v76
	v_lshl_add_u32 v44, v44, 3, 0
	v_add_f64_e32 v[2:3], v[2:3], v[20:21]
	s_delay_alu instid0(VALU_DEP_1) | instskip(NEXT) | instid1(VALU_DEP_1)
	v_add_f64_e32 v[2:3], v[2:3], v[22:23]
	v_add_f64_e32 v[2:3], v[2:3], v[40:41]
	ds_store_2addr_b64 v44, v[81:82], v[79:80] offset0:4 offset1:6
	ds_store_2addr_b64 v44, v[83:84], v[69:70] offset0:8 offset1:10
	;; [unrolled: 1-line block ×5, first 2 shown]
	ds_store_2addr_b64 v44, v[2:3], v[6:7] offset1:2
	ds_store_b64 v44, v[4:5] offset:192
.LBB0_25:
	s_wait_alu 0xfffe
	s_or_b32 exec_lo, exec_lo, s1
	v_lshl_add_u32 v69, v73, 3, 0
	v_lshl_add_u32 v70, v74, 3, 0
	v_lshl_add_u32 v71, v75, 3, 0
	global_wb scope:SCOPE_SE
	s_wait_dscnt 0x0
	s_barrier_signal -1
	v_add_nc_u32_e32 v74, 0x1000, v69
	v_add_nc_u32_e32 v75, 0x1c00, v69
	s_barrier_wait -1
	global_inv scope:SCOPE_SE
	ds_load_b64 v[42:43], v69
	ds_load_b64 v[44:45], v70
	;; [unrolled: 1-line block ×3, first 2 shown]
	ds_load_2addr_b64 v[2:5], v74 offset0:34 offset1:216
	ds_load_2addr_b64 v[6:9], v75 offset0:14 offset1:196
	global_wb scope:SCOPE_SE
	s_wait_dscnt 0x0
	s_barrier_signal -1
	s_barrier_wait -1
	global_inv scope:SCOPE_SE
	s_and_saveexec_b32 s33, s0
	s_cbranch_execz .LBB0_27
; %bb.26:
	v_add_f64_e32 v[77:78], v[0:1], v[66:67]
	v_add_f64_e32 v[66:67], v[66:67], v[10:11]
	s_mov_b32 s0, 0xe00740e9
	s_mov_b32 s34, 0x1ea71119
	;; [unrolled: 1-line block ×11, first 2 shown]
	v_add_f64_e64 v[38:39], v[38:39], -v[40:41]
	v_add_f64_e32 v[40:41], v[64:65], v[12:13]
	s_mov_b32 s45, 0xbfef11f4
	s_mov_b32 s4, 0x4267c47c
	;; [unrolled: 1-line block ×10, first 2 shown]
	s_wait_alu 0xfffe
	s_mov_b32 s20, s14
	s_mov_b32 s23, 0x3fedeba7
	s_mov_b32 s25, 0xbfedeba7
	s_mov_b32 s27, 0x3fe5384d
	s_mov_b32 s40, 0x4bc48dbf
	s_mov_b32 s24, s22
	s_mov_b32 s41, 0x3fcea1e5
	s_mov_b32 s43, 0xbfcea1e5
	v_add_f64_e64 v[22:23], v[60:61], -v[22:23]
	s_wait_alu 0xfffe
	s_mov_b32 s42, s40
	s_mov_b32 s39, 0xbfe5384d
	;; [unrolled: 1-line block ×4, first 2 shown]
	v_add_f64_e32 v[77:78], v[77:78], v[64:65]
	v_mul_f64_e32 v[64:65], s[0:1], v[66:67]
	v_mul_f64_e32 v[79:80], s[34:35], v[66:67]
	;; [unrolled: 1-line block ×6, first 2 shown]
	s_mov_b32 s18, s12
	s_mov_b32 s11, 0xbfddbe06
	;; [unrolled: 1-line block ×3, first 2 shown]
	v_add_f64_e64 v[20:21], v[58:59], -v[20:21]
	v_add_f64_e64 v[26:27], v[50:51], -v[26:27]
	;; [unrolled: 1-line block ×4, first 2 shown]
	v_mul_f64_e32 v[60:61], s[34:35], v[40:41]
	v_mul_f64_e32 v[87:88], s[30:31], v[40:41]
	;; [unrolled: 1-line block ×6, first 2 shown]
	v_add_f64_e32 v[77:78], v[77:78], v[62:63]
	v_add_f64_e32 v[62:63], v[62:63], v[14:15]
	v_fma_f64 v[95:96], v[38:39], s[4:5], v[64:65]
	v_fma_f64 v[97:98], v[38:39], s[14:15], v[79:80]
	;; [unrolled: 1-line block ×9, first 2 shown]
	s_wait_alu 0xfffe
	v_fma_f64 v[85:86], v[38:39], s[38:39], v[85:86]
	v_fma_f64 v[81:82], v[38:39], s[18:19], v[81:82]
	;; [unrolled: 1-line block ×15, first 2 shown]
	v_add_f64_e32 v[77:78], v[77:78], v[52:53]
	v_add_f64_e32 v[52:53], v[52:53], v[24:25]
	v_mul_f64_e32 v[58:59], s[28:29], v[62:63]
	v_mul_f64_e32 v[64:65], s[44:45], v[62:63]
	v_mul_f64_e32 v[107:108], s[30:31], v[62:63]
	v_mul_f64_e32 v[109:110], s[0:1], v[62:63]
	v_mul_f64_e32 v[111:112], s[34:35], v[62:63]
	v_mul_f64_e32 v[62:63], s[36:37], v[62:63]
	v_add_f64_e32 v[40:41], v[0:1], v[95:96]
	v_add_f64_e32 v[95:96], v[0:1], v[97:98]
	;; [unrolled: 1-line block ×14, first 2 shown]
	v_mul_f64_e32 v[48:49], s[30:31], v[52:53]
	v_mul_f64_e32 v[50:51], s[36:37], v[52:53]
	;; [unrolled: 1-line block ×6, first 2 shown]
	v_fma_f64 v[129:130], v[20:21], s[12:13], v[58:59]
	v_fma_f64 v[58:59], v[20:21], s[18:19], v[58:59]
	;; [unrolled: 1-line block ×12, first 2 shown]
	v_add_f64_e32 v[40:41], v[113:114], v[40:41]
	v_add_f64_e32 v[62:63], v[115:116], v[95:96]
	;; [unrolled: 1-line block ×12, first 2 shown]
	v_mul_f64_e32 v[34:35], s[28:29], v[38:39]
	v_mul_f64_e32 v[60:61], s[34:35], v[38:39]
	;; [unrolled: 1-line block ×3, first 2 shown]
	v_add_f64_e32 v[77:78], v[77:78], v[28:29]
	v_add_f64_e32 v[28:29], v[28:29], v[30:31]
	v_fma_f64 v[89:90], v[26:27], s[22:23], v[48:49]
	v_fma_f64 v[48:49], v[26:27], s[24:25], v[48:49]
	;; [unrolled: 1-line block ×12, first 2 shown]
	v_add_f64_e32 v[40:41], v[129:130], v[40:41]
	v_add_f64_e32 v[52:53], v[131:132], v[62:63]
	;; [unrolled: 1-line block ×12, first 2 shown]
	v_fma_f64 v[107:108], v[32:33], s[18:19], v[34:35]
	v_fma_f64 v[34:35], v[32:33], s[12:13], v[34:35]
	;; [unrolled: 1-line block ×6, first 2 shown]
	v_add_f64_e32 v[77:78], v[77:78], v[30:31]
	v_mul_f64_e32 v[30:31], s[36:37], v[38:39]
	v_mul_f64_e32 v[18:19], s[44:45], v[28:29]
	;; [unrolled: 1-line block ×5, first 2 shown]
	v_add_f64_e32 v[50:51], v[50:51], v[62:63]
	v_add_f64_e32 v[62:63], v[103:104], v[79:80]
	;; [unrolled: 1-line block ×8, first 2 shown]
	v_mul_f64_e32 v[77:78], s[44:45], v[38:39]
	v_mul_f64_e32 v[38:39], s[30:31], v[38:39]
	v_fma_f64 v[97:98], v[32:33], s[26:27], v[30:31]
	v_fma_f64 v[30:31], v[32:33], s[38:39], v[30:31]
	;; [unrolled: 1-line block ×6, first 2 shown]
	v_add_f64_e32 v[34:35], v[34:35], v[50:51]
	v_add_f64_e32 v[22:23], v[85:86], v[22:23]
	;; [unrolled: 1-line block ×4, first 2 shown]
	v_mul_f64_e32 v[36:37], s[0:1], v[28:29]
	v_mul_f64_e32 v[28:29], s[28:29], v[28:29]
	v_fma_f64 v[111:112], v[32:33], s[42:43], v[77:78]
	v_fma_f64 v[77:78], v[32:33], s[40:41], v[77:78]
	;; [unrolled: 1-line block ×4, first 2 shown]
	v_add_f64_e32 v[38:39], v[89:90], v[40:41]
	v_add_f64_e32 v[40:41], v[93:94], v[52:53]
	;; [unrolled: 1-line block ×5, first 2 shown]
	v_fma_f64 v[89:90], v[16:17], s[22:23], v[95:96]
	v_fma_f64 v[91:92], v[16:17], s[24:25], v[95:96]
	v_add_f64_e32 v[0:1], v[30:31], v[0:1]
	v_add_f64_e32 v[14:15], v[24:25], v[14:15]
	v_fma_f64 v[24:25], v[16:17], s[40:41], v[18:19]
	v_fma_f64 v[18:19], v[16:17], s[42:43], v[18:19]
	;; [unrolled: 1-line block ×6, first 2 shown]
	v_add_f64_e32 v[28:29], v[97:98], v[38:39]
	v_add_f64_e32 v[38:39], v[107:108], v[40:41]
	v_add_f64_e32 v[40:41], v[109:110], v[52:53]
	v_add_f64_e32 v[50:51], v[111:112], v[62:63]
	v_add_f64_e32 v[62:63], v[119:120], v[79:80]
	v_add_f64_e32 v[52:53], v[77:78], v[64:65]
	v_add_f64_e32 v[64:65], v[121:122], v[83:84]
	v_add_f64_e32 v[20:21], v[32:33], v[20:21]
	v_add_f64_e32 v[12:13], v[14:15], v[12:13]
	v_add_f64_e32 v[0:1], v[18:19], v[0:1]
	v_add_f64_e32 v[14:15], v[24:25], v[28:29]
	v_add_f64_e32 v[24:25], v[48:49], v[38:39]
	v_add_f64_e32 v[30:31], v[66:67], v[40:41]
	v_add_f64_e32 v[28:29], v[36:37], v[34:35]
	v_add_f64_e32 v[32:33], v[87:88], v[50:51]
	v_add_f64_e32 v[36:37], v[89:90], v[62:63]
	v_add_f64_e32 v[38:39], v[93:94], v[64:65]
	v_add_f64_e32 v[16:17], v[16:17], v[20:21]
	v_add_f64_e32 v[34:35], v[81:82], v[52:53]
	v_add_f64_e32 v[20:21], v[91:92], v[22:23]
	v_add_f64_e32 v[22:23], v[58:59], v[26:27]
	v_add_f64_e32 v[10:11], v[12:13], v[10:11]
	v_mul_u32_u24_e32 v12, 26, v68
	s_delay_alu instid0(VALU_DEP_1) | instskip(NEXT) | instid1(VALU_DEP_1)
	v_or_b32_e32 v12, v12, v76
	v_lshl_add_u32 v12, v12, 3, 0
	ds_store_2addr_b64 v12, v[24:25], v[30:31] offset0:4 offset1:6
	ds_store_2addr_b64 v12, v[32:33], v[36:37] offset0:8 offset1:10
	;; [unrolled: 1-line block ×5, first 2 shown]
	ds_store_2addr_b64 v12, v[10:11], v[14:15] offset1:2
	ds_store_b64 v12, v[0:1] offset:192
.LBB0_27:
	s_or_b32 exec_lo, exec_lo, s33
	v_and_b32_e32 v0, 0xff, v73
	global_wb scope:SCOPE_SE
	s_wait_dscnt 0x0
	s_barrier_signal -1
	s_barrier_wait -1
	global_inv scope:SCOPE_SE
	v_mul_lo_u16 v0, 0x4f, v0
	s_mov_b32 s24, 0x37e14327
	s_mov_b32 s26, 0xe976ee23
	;; [unrolled: 1-line block ×4, first 2 shown]
	v_lshrrev_b16 v66, 11, v0
	s_mov_b32 s0, 0x429ad128
	s_mov_b32 s4, 0x36b3c0b5
	;; [unrolled: 1-line block ×4, first 2 shown]
	v_mul_lo_u16 v0, v66, 26
	s_mov_b32 s10, 0xaaaaaaaa
	s_mov_b32 s20, 0xb247c609
	;; [unrolled: 1-line block ×4, first 2 shown]
	v_sub_nc_u16 v0, v73, v0
	s_mov_b32 s21, 0xbfd5d0dc
	s_mov_b32 s13, 0x3fe77f67
	;; [unrolled: 1-line block ×4, first 2 shown]
	v_and_b32_e32 v67, 0xff, v0
	s_wait_alu 0xfffe
	s_mov_b32 s18, s12
	s_mov_b32 s22, s20
	;; [unrolled: 1-line block ×4, first 2 shown]
	v_mul_u32_u24_e32 v0, 6, v67
	s_delay_alu instid0(VALU_DEP_1)
	v_lshlrev_b32_e32 v0, 4, v0
	s_clause 0x5
	global_load_b128 v[10:13], v0, s[8:9] offset:384
	global_load_b128 v[14:17], v0, s[8:9] offset:400
	;; [unrolled: 1-line block ×6, first 2 shown]
	ds_load_b64 v[0:1], v70
	ds_load_b64 v[48:49], v71
	ds_load_2addr_b64 v[34:37], v75 offset0:14 offset1:196
	ds_load_2addr_b64 v[38:41], v74 offset0:34 offset1:216
	s_wait_loadcnt_dscnt 0x503
	v_mul_f64_e32 v[50:51], v[0:1], v[12:13]
	s_wait_loadcnt_dscnt 0x402
	v_mul_f64_e32 v[52:53], v[48:49], v[16:17]
	;; [unrolled: 2-line block ×3, first 2 shown]
	s_wait_loadcnt 0x2
	v_mul_f64_e32 v[60:61], v[34:35], v[24:25]
	v_mul_f64_e32 v[12:13], v[44:45], v[12:13]
	;; [unrolled: 1-line block ×5, first 2 shown]
	s_wait_loadcnt_dscnt 0x100
	v_mul_f64_e32 v[62:63], v[38:39], v[28:29]
	v_mul_f64_e32 v[28:29], v[2:3], v[28:29]
	s_wait_loadcnt 0x0
	v_mul_f64_e32 v[64:65], v[40:41], v[32:33]
	v_mul_f64_e32 v[32:33], v[4:5], v[32:33]
	v_fma_f64 v[44:45], v[44:45], v[10:11], v[50:51]
	v_fma_f64 v[46:47], v[46:47], v[14:15], v[52:53]
	;; [unrolled: 1-line block ×4, first 2 shown]
	v_fma_f64 v[0:1], v[0:1], v[10:11], -v[12:13]
	v_fma_f64 v[10:11], v[48:49], v[14:15], -v[16:17]
	;; [unrolled: 1-line block ×4, first 2 shown]
	v_fma_f64 v[2:3], v[2:3], v[26:27], v[62:63]
	v_fma_f64 v[16:17], v[38:39], v[26:27], -v[28:29]
	v_fma_f64 v[4:5], v[4:5], v[30:31], v[64:65]
	v_fma_f64 v[18:19], v[40:41], v[30:31], -v[32:33]
	v_add_f64_e32 v[20:21], v[44:45], v[8:9]
	v_add_f64_e32 v[22:23], v[46:47], v[6:7]
	v_add_f64_e64 v[6:7], v[46:47], -v[6:7]
	v_add_f64_e32 v[24:25], v[0:1], v[12:13]
	v_add_f64_e32 v[26:27], v[10:11], v[14:15]
	v_add_f64_e64 v[10:11], v[10:11], -v[14:15]
	v_add_f64_e64 v[0:1], v[0:1], -v[12:13]
	v_add_f64_e32 v[14:15], v[2:3], v[4:5]
	v_add_f64_e64 v[28:29], v[18:19], -v[16:17]
	v_add_f64_e32 v[16:17], v[16:17], v[18:19]
	v_add_f64_e64 v[2:3], v[4:5], -v[2:3]
	v_add_f64_e64 v[4:5], v[44:45], -v[8:9]
	ds_load_b64 v[44:45], v69
	global_wb scope:SCOPE_SE
	s_wait_dscnt 0x0
	s_barrier_signal -1
	s_barrier_wait -1
	global_inv scope:SCOPE_SE
	v_add_f64_e32 v[12:13], v[22:23], v[20:21]
	v_add_f64_e32 v[8:9], v[26:27], v[24:25]
	v_add_f64_e64 v[32:33], v[10:11], -v[0:1]
	v_add_f64_e64 v[18:19], v[20:21], -v[14:15]
	;; [unrolled: 1-line block ×6, first 2 shown]
	v_add_f64_e32 v[10:11], v[28:29], v[10:11]
	v_add_f64_e64 v[28:29], v[0:1], -v[28:29]
	v_add_f64_e64 v[20:21], v[22:23], -v[20:21]
	v_add_f64_e32 v[6:7], v[2:3], v[6:7]
	v_add_f64_e64 v[2:3], v[4:5], -v[2:3]
	v_add_f64_e64 v[24:25], v[26:27], -v[24:25]
	v_add_f64_e32 v[12:13], v[14:15], v[12:13]
	v_add_f64_e64 v[14:15], v[14:15], -v[22:23]
	v_add_f64_e32 v[8:9], v[16:17], v[8:9]
	v_add_f64_e64 v[16:17], v[16:17], -v[26:27]
	v_mul_f64_e32 v[40:41], s[0:1], v[32:33]
	v_mul_f64_e32 v[18:19], s[24:25], v[18:19]
	;; [unrolled: 1-line block ×6, first 2 shown]
	v_add_f64_e32 v[0:1], v[10:11], v[0:1]
	v_add_f64_e32 v[4:5], v[6:7], v[4:5]
	v_add_f64_e32 v[42:43], v[42:43], v[12:13]
	v_mul_f64_e32 v[22:23], s[4:5], v[14:15]
	v_add_f64_e32 v[44:45], v[44:45], v[8:9]
	v_mul_f64_e32 v[26:27], s[4:5], v[16:17]
	v_fma_f64 v[10:11], v[14:15], s[4:5], v[18:19]
	v_fma_f64 v[14:15], v[28:29], s[20:21], v[30:31]
	v_fma_f64 v[30:31], v[32:33], s[0:1], -v[30:31]
	s_wait_alu 0xfffe
	v_fma_f64 v[28:29], v[28:29], s[22:23], -v[40:41]
	v_fma_f64 v[18:19], v[20:21], s[18:19], -v[18:19]
	v_fma_f64 v[6:7], v[16:17], s[4:5], v[34:35]
	v_fma_f64 v[16:17], v[2:3], s[20:21], v[36:37]
	v_fma_f64 v[2:3], v[2:3], s[22:23], -v[46:47]
	v_fma_f64 v[32:33], v[24:25], s[18:19], -v[34:35]
	v_fma_f64 v[12:13], v[12:13], s[10:11], v[42:43]
	v_fma_f64 v[20:21], v[20:21], s[12:13], -v[22:23]
	v_fma_f64 v[22:23], v[38:39], s[0:1], -v[36:37]
	v_fma_f64 v[8:9], v[8:9], s[10:11], v[44:45]
	v_fma_f64 v[24:25], v[24:25], s[12:13], -v[26:27]
	v_fma_f64 v[14:15], v[0:1], s[14:15], v[14:15]
	v_fma_f64 v[26:27], v[0:1], s[14:15], v[30:31]
	v_fma_f64 v[0:1], v[0:1], s[14:15], v[28:29]
	v_fma_f64 v[16:17], v[4:5], s[14:15], v[16:17]
	v_fma_f64 v[2:3], v[4:5], s[14:15], v[2:3]
	v_add_f64_e32 v[10:11], v[10:11], v[12:13]
	v_add_f64_e32 v[18:19], v[18:19], v[12:13]
	;; [unrolled: 1-line block ×3, first 2 shown]
	v_fma_f64 v[20:21], v[4:5], s[14:15], v[22:23]
	v_add_f64_e32 v[4:5], v[6:7], v[8:9]
	v_add_f64_e32 v[6:7], v[32:33], v[8:9]
	;; [unrolled: 1-line block ×5, first 2 shown]
	v_add_f64_e64 v[28:29], v[12:13], -v[26:27]
	v_add_f64_e32 v[12:13], v[26:27], v[12:13]
	v_add_f64_e64 v[0:1], v[18:19], -v[0:1]
	v_add_f64_e64 v[10:11], v[10:11], -v[14:15]
	v_and_b32_e32 v14, 0xffff, v66
	v_add_f64_e64 v[18:19], v[6:7], -v[2:3]
	v_add_f64_e32 v[26:27], v[20:21], v[8:9]
	v_add_f64_e64 v[20:21], v[8:9], -v[20:21]
	v_add_f64_e32 v[30:31], v[2:3], v[6:7]
	v_mul_u32_u24_e32 v32, 0x5b0, v14
	v_add_f64_e64 v[14:15], v[4:5], -v[16:17]
	v_add_f64_e32 v[16:17], v[16:17], v[4:5]
	v_lshlrev_b32_e32 v2, 3, v67
	s_delay_alu instid0(VALU_DEP_1)
	v_add3_u32 v32, 0, v32, v2
	ds_store_2addr_b64 v32, v[42:43], v[22:23] offset1:26
	ds_store_2addr_b64 v32, v[24:25], v[28:29] offset0:52 offset1:78
	ds_store_2addr_b64 v32, v[12:13], v[0:1] offset0:104 offset1:130
	ds_store_b64 v32, v[10:11] offset:1248
	global_wb scope:SCOPE_SE
	s_wait_dscnt 0x0
	s_barrier_signal -1
	s_barrier_wait -1
	global_inv scope:SCOPE_SE
	ds_load_b64 v[8:9], v69
	ds_load_b64 v[10:11], v70
	;; [unrolled: 1-line block ×3, first 2 shown]
	ds_load_2addr_b64 v[0:3], v74 offset0:34 offset1:216
	ds_load_2addr_b64 v[4:7], v75 offset0:14 offset1:196
	global_wb scope:SCOPE_SE
	s_wait_dscnt 0x0
	s_barrier_signal -1
	s_barrier_wait -1
	global_inv scope:SCOPE_SE
	ds_store_2addr_b64 v32, v[44:45], v[14:15] offset1:26
	ds_store_2addr_b64 v32, v[18:19], v[26:27] offset0:52 offset1:78
	ds_store_2addr_b64 v32, v[20:21], v[30:31] offset0:104 offset1:130
	ds_store_b64 v32, v[16:17] offset:1248
	global_wb scope:SCOPE_SE
	s_wait_dscnt 0x0
	s_barrier_signal -1
	s_barrier_wait -1
	global_inv scope:SCOPE_SE
	s_and_saveexec_b32 s28, vcc_lo
	s_cbranch_execz .LBB0_29
; %bb.28:
	v_mul_u32_u24_e32 v14, 6, v73
	v_mul_lo_u32 v57, s2, v57
	s_delay_alu instid0(VALU_DEP_2)
	v_lshlrev_b32_e32 v34, 4, v14
	s_clause 0x5
	global_load_b128 v[14:17], v34, s[8:9] offset:2896
	global_load_b128 v[18:21], v34, s[8:9] offset:2944
	;; [unrolled: 1-line block ×6, first 2 shown]
	s_wait_loadcnt 0x5
	v_mul_f64_e32 v[38:39], v[12:13], v[16:17]
	s_wait_loadcnt 0x4
	v_mul_f64_e32 v[40:41], v[4:5], v[20:21]
	;; [unrolled: 2-line block ×4, first 2 shown]
	v_mul_f64_e32 v[46:47], v[4:5], v[18:19]
	v_add_nc_u32_e32 v4, 0x1c00, v69
	v_mul_f64_e32 v[12:13], v[12:13], v[14:15]
	v_mul_f64_e32 v[10:11], v[10:11], v[22:23]
	;; [unrolled: 1-line block ×3, first 2 shown]
	ds_load_b64 v[50:51], v71
	ds_load_2addr_b64 v[4:7], v4 offset0:14 offset1:196
	ds_load_b64 v[52:53], v70
	ds_load_b64 v[58:59], v69
	s_wait_loadcnt 0x1
	v_mul_f64_e32 v[60:61], v[2:3], v[30:31]
	s_wait_loadcnt 0x0
	v_mul_f64_e32 v[62:63], v[0:1], v[34:35]
	v_mul_f64_e32 v[64:65], v[0:1], v[36:37]
	;; [unrolled: 1-line block ×3, first 2 shown]
	v_add_nc_u32_e32 v0, 0x1000, v69
	ds_load_2addr_b64 v[0:3], v0 offset0:34 offset1:216
	s_wait_dscnt 0x4
	v_fma_f64 v[14:15], v[50:51], v[14:15], -v[38:39]
	s_wait_dscnt 0x3
	v_fma_f64 v[18:19], v[4:5], v[18:19], -v[40:41]
	;; [unrolled: 2-line block ×3, first 2 shown]
	v_fma_f64 v[26:27], v[6:7], v[26:27], -v[44:45]
	v_fma_f64 v[4:5], v[4:5], v[20:21], v[46:47]
	v_fma_f64 v[12:13], v[50:51], v[16:17], v[12:13]
	;; [unrolled: 1-line block ×4, first 2 shown]
	v_mad_co_u64_u32 v[50:51], null, s16, v72, 0
	s_wait_dscnt 0x0
	v_fma_f64 v[16:17], v[2:3], v[32:33], v[60:61]
	v_fma_f64 v[20:21], v[0:1], v[36:37], v[62:63]
	v_fma_f64 v[0:1], v[0:1], v[34:35], -v[64:65]
	v_fma_f64 v[2:3], v[2:3], v[30:31], -v[66:67]
	v_add_nc_u32_e32 v62, 0x16c, v72
	v_add_nc_u32_e32 v63, 0x222, v72
	;; [unrolled: 1-line block ×3, first 2 shown]
	v_lshlrev_b64_e32 v[52:53], 4, v[54:55]
	v_add_nc_u32_e32 v64, 0x2d8, v72
	v_add_nc_u32_e32 v65, 0x38e, v72
	s_delay_alu instid0(VALU_DEP_4)
	v_mad_co_u64_u32 v[54:55], null, s16, v66, 0
	v_add_f64_e32 v[24:25], v[14:15], v[18:19]
	v_add_f64_e32 v[28:29], v[22:23], v[26:27]
	;; [unrolled: 1-line block ×3, first 2 shown]
	v_add_f64_e64 v[4:5], v[12:13], -v[4:5]
	v_add_f64_e32 v[32:33], v[10:11], v[6:7]
	v_add_f64_e64 v[6:7], v[10:11], -v[6:7]
	v_add_f64_e64 v[34:35], v[16:17], -v[20:21]
	v_add_f64_e32 v[16:17], v[16:17], v[20:21]
	v_add_f64_e32 v[12:13], v[2:3], v[0:1]
	v_add_f64_e64 v[0:1], v[2:3], -v[0:1]
	v_add_f64_e64 v[2:3], v[14:15], -v[18:19]
	;; [unrolled: 1-line block ×3, first 2 shown]
	v_add_f64_e32 v[10:11], v[24:25], v[28:29]
	v_add_f64_e32 v[18:19], v[30:31], v[32:33]
	v_add_f64_e64 v[36:37], v[4:5], -v[6:7]
	v_add_f64_e64 v[20:21], v[34:35], -v[4:5]
	;; [unrolled: 1-line block ×4, first 2 shown]
	v_add_f64_e32 v[4:5], v[34:35], v[4:5]
	v_add_f64_e64 v[38:39], v[0:1], -v[2:3]
	v_add_f64_e64 v[40:41], v[2:3], -v[14:15]
	;; [unrolled: 1-line block ×3, first 2 shown]
	v_add_f64_e32 v[42:43], v[0:1], v[2:3]
	v_add_f64_e64 v[46:47], v[14:15], -v[0:1]
	v_add_f64_e32 v[10:11], v[12:13], v[10:11]
	v_add_f64_e64 v[12:13], v[12:13], -v[24:25]
	v_add_f64_e64 v[24:25], v[24:25], -v[28:29]
	v_add_f64_e32 v[18:19], v[16:17], v[18:19]
	v_add_f64_e64 v[16:17], v[16:17], -v[30:31]
	v_mul_f64_e32 v[44:45], s[0:1], v[36:37]
	v_mul_f64_e32 v[20:21], s[26:27], v[20:21]
	;; [unrolled: 1-line block ×4, first 2 shown]
	v_add_f64_e32 v[4:5], v[4:5], v[6:7]
	v_mul_f64_e32 v[38:39], s[26:27], v[38:39]
	v_mul_f64_e32 v[48:49], s[0:1], v[40:41]
	v_add_f64_e32 v[6:7], v[42:43], v[14:15]
	v_add_f64_e32 v[2:3], v[58:59], v[10:11]
	v_mul_f64_e32 v[28:29], s[4:5], v[12:13]
	v_mul_lo_u32 v58, s3, v56
	v_add_f64_e32 v[0:1], v[8:9], v[18:19]
	v_add_f64_e64 v[8:9], v[30:31], -v[32:33]
	v_mul_f64_e32 v[30:31], s[4:5], v[16:17]
	v_mad_co_u64_u32 v[32:33], null, s2, v56, 0
	v_fma_f64 v[14:15], v[34:35], s[20:21], v[20:21]
	v_fma_f64 v[12:13], v[12:13], s[4:5], v[22:23]
	v_fma_f64 v[20:21], v[36:37], s[0:1], -v[20:21]
	v_fma_f64 v[22:23], v[24:25], s[18:19], -v[22:23]
	;; [unrolled: 1-line block ×3, first 2 shown]
	v_fma_f64 v[16:17], v[16:17], s[4:5], v[26:27]
	v_fma_f64 v[34:35], v[34:35], s[22:23], -v[44:45]
	v_mov_b32_e32 v48, v51
	v_mad_co_u64_u32 v[42:43], null, s16, v63, 0
	v_add3_u32 v33, v33, v57, v58
	v_mad_co_u64_u32 v[44:45], null, s16, v64, 0
	s_delay_alu instid0(VALU_DEP_4) | instskip(NEXT) | instid1(VALU_DEP_3)
	v_mad_co_u64_u32 v[48:49], null, s17, v72, v[48:49]
	v_lshlrev_b64_e32 v[32:33], 4, v[32:33]
	v_mov_b32_e32 v49, v55
	s_delay_alu instid0(VALU_DEP_3)
	v_mov_b32_e32 v51, v48
	v_fma_f64 v[10:11], v[10:11], s[10:11], v[2:3]
	v_fma_f64 v[24:25], v[24:25], s[12:13], -v[28:29]
	v_fma_f64 v[28:29], v[46:47], s[20:21], v[38:39]
	v_fma_f64 v[38:39], v[40:41], s[0:1], -v[38:39]
	v_mad_co_u64_u32 v[40:41], null, s16, v62, 0
	v_fma_f64 v[18:19], v[18:19], s[10:11], v[0:1]
	v_fma_f64 v[26:27], v[8:9], s[18:19], -v[26:27]
	v_fma_f64 v[8:9], v[8:9], s[12:13], -v[30:31]
	v_mad_co_u64_u32 v[46:47], null, s16, v65, 0
	v_fma_f64 v[36:37], v[6:7], s[14:15], v[36:37]
	v_fma_f64 v[34:35], v[4:5], s[14:15], v[34:35]
	v_add_f64_e32 v[12:13], v[12:13], v[10:11]
	v_fma_f64 v[28:29], v[6:7], s[14:15], v[28:29]
	v_fma_f64 v[38:39], v[6:7], s[14:15], v[38:39]
	v_mad_co_u64_u32 v[6:7], null, s17, v62, v[41:42]
	v_add_nc_u32_e32 v56, 0xb6, v72
	v_add_f64_e32 v[58:59], v[16:17], v[18:19]
	v_add_f64_e32 v[60:61], v[26:27], v[18:19]
	;; [unrolled: 1-line block ×3, first 2 shown]
	v_add_co_u32 v7, vcc_lo, s6, v32
	v_mov_b32_e32 v41, v6
	v_mad_co_u64_u32 v[30:31], null, s16, v56, 0
	s_delay_alu instid0(VALU_DEP_2) | instskip(NEXT) | instid1(VALU_DEP_2)
	v_lshlrev_b64_e32 v[40:41], 4, v[40:41]
	v_mad_co_u64_u32 v[55:56], null, s17, v56, v[31:32]
	v_fma_f64 v[56:57], v[4:5], s[14:15], v[14:15]
	v_fma_f64 v[4:5], v[4:5], s[14:15], v[20:21]
	v_add_f64_e32 v[20:21], v[22:23], v[10:11]
	v_add_f64_e32 v[22:23], v[24:25], v[10:11]
	v_mad_co_u64_u32 v[14:15], null, s17, v64, v[45:46]
	v_mad_co_u64_u32 v[15:16], null, s17, v65, v[47:48]
	;; [unrolled: 1-line block ×3, first 2 shown]
	s_wait_alu 0xfffd
	v_add_co_ci_u32_e32 v11, vcc_lo, s7, v33, vcc_lo
	v_add_co_u32 v48, vcc_lo, v7, v52
	s_delay_alu instid0(VALU_DEP_4)
	v_mov_b32_e32 v47, v15
	v_mad_co_u64_u32 v[16:17], null, s17, v66, v[49:50]
	s_wait_alu 0xfffd
	v_add_co_ci_u32_e32 v49, vcc_lo, v11, v53, vcc_lo
	v_mov_b32_e32 v43, v10
	v_mov_b32_e32 v45, v14
	;; [unrolled: 1-line block ×3, first 2 shown]
	v_add_f64_e32 v[24:25], v[28:29], v[58:59]
	v_mov_b32_e32 v55, v16
	v_add_f64_e64 v[16:17], v[8:9], -v[38:39]
	v_lshlrev_b64_e32 v[32:33], 4, v[50:51]
	v_lshlrev_b64_e32 v[30:31], 4, v[30:31]
	;; [unrolled: 1-line block ×3, first 2 shown]
	s_delay_alu instid0(VALU_DEP_3) | instskip(SKIP_1) | instid1(VALU_DEP_4)
	v_add_co_u32 v32, vcc_lo, v48, v32
	s_wait_alu 0xfffd
	v_add_co_ci_u32_e32 v33, vcc_lo, v49, v33, vcc_lo
	s_delay_alu instid0(VALU_DEP_4)
	v_add_co_u32 v30, vcc_lo, v48, v30
	s_wait_alu 0xfffd
	v_add_co_ci_u32_e32 v31, vcc_lo, v49, v31, vcc_lo
	v_add_f64_e64 v[26:27], v[12:13], -v[56:57]
	v_add_f64_e32 v[10:11], v[34:35], v[20:21]
	v_add_f64_e64 v[14:15], v[22:23], -v[4:5]
	v_add_f64_e32 v[18:19], v[4:5], v[22:23]
	v_add_f64_e64 v[22:23], v[20:21], -v[34:35]
	v_add_f64_e32 v[20:21], v[36:37], v[60:61]
	v_add_f64_e32 v[6:7], v[56:57], v[12:13]
	v_add_f64_e32 v[12:13], v[38:39], v[8:9]
	v_add_f64_e64 v[8:9], v[60:61], -v[36:37]
	v_add_f64_e64 v[4:5], v[58:59], -v[28:29]
	v_lshlrev_b64_e32 v[28:29], 4, v[44:45]
	v_add_co_u32 v38, vcc_lo, v48, v40
	s_wait_alu 0xfffd
	v_add_co_ci_u32_e32 v39, vcc_lo, v49, v41, vcc_lo
	v_lshlrev_b64_e32 v[34:35], 4, v[46:47]
	v_add_co_u32 v40, vcc_lo, v48, v42
	s_wait_alu 0xfffd
	v_add_co_ci_u32_e32 v41, vcc_lo, v49, v43, vcc_lo
	;; [unrolled: 4-line block ×3, first 2 shown]
	v_add_co_u32 v34, vcc_lo, v48, v34
	s_wait_alu 0xfffd
	v_add_co_ci_u32_e32 v35, vcc_lo, v49, v35, vcc_lo
	v_add_co_u32 v36, vcc_lo, v48, v36
	s_wait_alu 0xfffd
	v_add_co_ci_u32_e32 v37, vcc_lo, v49, v37, vcc_lo
	s_clause 0x6
	global_store_b128 v[32:33], v[0:3], off
	global_store_b128 v[30:31], v[24:27], off
	;; [unrolled: 1-line block ×7, first 2 shown]
.LBB0_29:
	s_nop 0
	s_sendmsg sendmsg(MSG_DEALLOC_VGPRS)
	s_endpgm
	.section	.rodata,"a",@progbits
	.p2align	6, 0x0
	.amdhsa_kernel fft_rtc_back_len1274_factors_2_13_7_7_wgs_182_tpt_182_halfLds_dp_op_CI_CI_sbrr_dirReg
		.amdhsa_group_segment_fixed_size 0
		.amdhsa_private_segment_fixed_size 0
		.amdhsa_kernarg_size 104
		.amdhsa_user_sgpr_count 2
		.amdhsa_user_sgpr_dispatch_ptr 0
		.amdhsa_user_sgpr_queue_ptr 0
		.amdhsa_user_sgpr_kernarg_segment_ptr 1
		.amdhsa_user_sgpr_dispatch_id 0
		.amdhsa_user_sgpr_private_segment_size 0
		.amdhsa_wavefront_size32 1
		.amdhsa_uses_dynamic_stack 0
		.amdhsa_enable_private_segment 0
		.amdhsa_system_sgpr_workgroup_id_x 1
		.amdhsa_system_sgpr_workgroup_id_y 0
		.amdhsa_system_sgpr_workgroup_id_z 0
		.amdhsa_system_sgpr_workgroup_info 0
		.amdhsa_system_vgpr_workitem_id 0
		.amdhsa_next_free_vgpr 159
		.amdhsa_next_free_sgpr 46
		.amdhsa_reserve_vcc 1
		.amdhsa_float_round_mode_32 0
		.amdhsa_float_round_mode_16_64 0
		.amdhsa_float_denorm_mode_32 3
		.amdhsa_float_denorm_mode_16_64 3
		.amdhsa_fp16_overflow 0
		.amdhsa_workgroup_processor_mode 1
		.amdhsa_memory_ordered 1
		.amdhsa_forward_progress 0
		.amdhsa_round_robin_scheduling 0
		.amdhsa_exception_fp_ieee_invalid_op 0
		.amdhsa_exception_fp_denorm_src 0
		.amdhsa_exception_fp_ieee_div_zero 0
		.amdhsa_exception_fp_ieee_overflow 0
		.amdhsa_exception_fp_ieee_underflow 0
		.amdhsa_exception_fp_ieee_inexact 0
		.amdhsa_exception_int_div_zero 0
	.end_amdhsa_kernel
	.text
.Lfunc_end0:
	.size	fft_rtc_back_len1274_factors_2_13_7_7_wgs_182_tpt_182_halfLds_dp_op_CI_CI_sbrr_dirReg, .Lfunc_end0-fft_rtc_back_len1274_factors_2_13_7_7_wgs_182_tpt_182_halfLds_dp_op_CI_CI_sbrr_dirReg
                                        ; -- End function
	.section	.AMDGPU.csdata,"",@progbits
; Kernel info:
; codeLenInByte = 9084
; NumSgprs: 48
; NumVgprs: 159
; ScratchSize: 0
; MemoryBound: 1
; FloatMode: 240
; IeeeMode: 1
; LDSByteSize: 0 bytes/workgroup (compile time only)
; SGPRBlocks: 5
; VGPRBlocks: 19
; NumSGPRsForWavesPerEU: 48
; NumVGPRsForWavesPerEU: 159
; Occupancy: 9
; WaveLimiterHint : 1
; COMPUTE_PGM_RSRC2:SCRATCH_EN: 0
; COMPUTE_PGM_RSRC2:USER_SGPR: 2
; COMPUTE_PGM_RSRC2:TRAP_HANDLER: 0
; COMPUTE_PGM_RSRC2:TGID_X_EN: 1
; COMPUTE_PGM_RSRC2:TGID_Y_EN: 0
; COMPUTE_PGM_RSRC2:TGID_Z_EN: 0
; COMPUTE_PGM_RSRC2:TIDIG_COMP_CNT: 0
	.text
	.p2alignl 7, 3214868480
	.fill 96, 4, 3214868480
	.type	__hip_cuid_a7d7334fdefb02a,@object ; @__hip_cuid_a7d7334fdefb02a
	.section	.bss,"aw",@nobits
	.globl	__hip_cuid_a7d7334fdefb02a
__hip_cuid_a7d7334fdefb02a:
	.byte	0                               ; 0x0
	.size	__hip_cuid_a7d7334fdefb02a, 1

	.ident	"AMD clang version 19.0.0git (https://github.com/RadeonOpenCompute/llvm-project roc-6.4.0 25133 c7fe45cf4b819c5991fe208aaa96edf142730f1d)"
	.section	".note.GNU-stack","",@progbits
	.addrsig
	.addrsig_sym __hip_cuid_a7d7334fdefb02a
	.amdgpu_metadata
---
amdhsa.kernels:
  - .args:
      - .actual_access:  read_only
        .address_space:  global
        .offset:         0
        .size:           8
        .value_kind:     global_buffer
      - .offset:         8
        .size:           8
        .value_kind:     by_value
      - .actual_access:  read_only
        .address_space:  global
        .offset:         16
        .size:           8
        .value_kind:     global_buffer
      - .actual_access:  read_only
        .address_space:  global
        .offset:         24
        .size:           8
        .value_kind:     global_buffer
      - .actual_access:  read_only
        .address_space:  global
        .offset:         32
        .size:           8
        .value_kind:     global_buffer
      - .offset:         40
        .size:           8
        .value_kind:     by_value
      - .actual_access:  read_only
        .address_space:  global
        .offset:         48
        .size:           8
        .value_kind:     global_buffer
      - .actual_access:  read_only
        .address_space:  global
        .offset:         56
        .size:           8
        .value_kind:     global_buffer
      - .offset:         64
        .size:           4
        .value_kind:     by_value
      - .actual_access:  read_only
        .address_space:  global
        .offset:         72
        .size:           8
        .value_kind:     global_buffer
      - .actual_access:  read_only
        .address_space:  global
        .offset:         80
        .size:           8
        .value_kind:     global_buffer
      - .actual_access:  read_only
        .address_space:  global
        .offset:         88
        .size:           8
        .value_kind:     global_buffer
      - .actual_access:  write_only
        .address_space:  global
        .offset:         96
        .size:           8
        .value_kind:     global_buffer
    .group_segment_fixed_size: 0
    .kernarg_segment_align: 8
    .kernarg_segment_size: 104
    .language:       OpenCL C
    .language_version:
      - 2
      - 0
    .max_flat_workgroup_size: 182
    .name:           fft_rtc_back_len1274_factors_2_13_7_7_wgs_182_tpt_182_halfLds_dp_op_CI_CI_sbrr_dirReg
    .private_segment_fixed_size: 0
    .sgpr_count:     48
    .sgpr_spill_count: 0
    .symbol:         fft_rtc_back_len1274_factors_2_13_7_7_wgs_182_tpt_182_halfLds_dp_op_CI_CI_sbrr_dirReg.kd
    .uniform_work_group_size: 1
    .uses_dynamic_stack: false
    .vgpr_count:     159
    .vgpr_spill_count: 0
    .wavefront_size: 32
    .workgroup_processor_mode: 1
amdhsa.target:   amdgcn-amd-amdhsa--gfx1201
amdhsa.version:
  - 1
  - 2
...

	.end_amdgpu_metadata
